;; amdgpu-corpus repo=ROCm/rocFFT kind=compiled arch=gfx1100 opt=O3
	.text
	.amdgcn_target "amdgcn-amd-amdhsa--gfx1100"
	.amdhsa_code_object_version 6
	.protected	fft_rtc_fwd_len560_factors_8_7_5_2_wgs_56_tpt_56_dp_op_CI_CI_sbrr_dirReg ; -- Begin function fft_rtc_fwd_len560_factors_8_7_5_2_wgs_56_tpt_56_dp_op_CI_CI_sbrr_dirReg
	.globl	fft_rtc_fwd_len560_factors_8_7_5_2_wgs_56_tpt_56_dp_op_CI_CI_sbrr_dirReg
	.p2align	8
	.type	fft_rtc_fwd_len560_factors_8_7_5_2_wgs_56_tpt_56_dp_op_CI_CI_sbrr_dirReg,@function
fft_rtc_fwd_len560_factors_8_7_5_2_wgs_56_tpt_56_dp_op_CI_CI_sbrr_dirReg: ; @fft_rtc_fwd_len560_factors_8_7_5_2_wgs_56_tpt_56_dp_op_CI_CI_sbrr_dirReg
; %bb.0:
	s_clause 0x2
	s_load_b128 s[16:19], s[0:1], 0x18
	s_load_b128 s[8:11], s[0:1], 0x0
	;; [unrolled: 1-line block ×3, first 2 shown]
	v_mul_u32_u24_e32 v1, 0x493, v0
	v_mov_b32_e32 v3, 0
	s_waitcnt lgkmcnt(0)
	s_load_b64 s[20:21], s[16:17], 0x0
	s_load_b64 s[12:13], s[18:19], 0x0
	v_lshrrev_b32_e32 v1, 16, v1
	v_cmp_lt_u64_e64 s2, s[10:11], 2
	s_delay_alu instid0(VALU_DEP_2)
	v_add_nc_u32_e32 v5, s15, v1
	v_mov_b32_e32 v1, 0
	v_mov_b32_e32 v2, 0
	;; [unrolled: 1-line block ×3, first 2 shown]
	s_and_b32 vcc_lo, exec_lo, s2
	s_cbranch_vccnz .LBB0_8
; %bb.1:
	s_load_b64 s[2:3], s[0:1], 0x10
	v_mov_b32_e32 v1, 0
	v_mov_b32_e32 v2, 0
	s_add_u32 s14, s18, 8
	s_addc_u32 s15, s19, 0
	s_add_u32 s22, s16, 8
	s_addc_u32 s23, s17, 0
	v_dual_mov_b32 v81, v2 :: v_dual_mov_b32 v80, v1
	s_mov_b64 s[26:27], 1
	s_waitcnt lgkmcnt(0)
	s_add_u32 s24, s2, 8
	s_addc_u32 s25, s3, 0
.LBB0_2:                                ; =>This Inner Loop Header: Depth=1
	s_load_b64 s[28:29], s[24:25], 0x0
                                        ; implicit-def: $vgpr84_vgpr85
	s_mov_b32 s2, exec_lo
	s_waitcnt lgkmcnt(0)
	v_or_b32_e32 v4, s29, v6
	s_delay_alu instid0(VALU_DEP_1)
	v_cmpx_ne_u64_e32 0, v[3:4]
	s_xor_b32 s3, exec_lo, s2
	s_cbranch_execz .LBB0_4
; %bb.3:                                ;   in Loop: Header=BB0_2 Depth=1
	v_cvt_f32_u32_e32 v4, s28
	v_cvt_f32_u32_e32 v7, s29
	s_sub_u32 s2, 0, s28
	s_subb_u32 s30, 0, s29
	s_delay_alu instid0(VALU_DEP_1) | instskip(NEXT) | instid1(VALU_DEP_1)
	v_fmac_f32_e32 v4, 0x4f800000, v7
	v_rcp_f32_e32 v4, v4
	s_waitcnt_depctr 0xfff
	v_mul_f32_e32 v4, 0x5f7ffffc, v4
	s_delay_alu instid0(VALU_DEP_1) | instskip(NEXT) | instid1(VALU_DEP_1)
	v_mul_f32_e32 v7, 0x2f800000, v4
	v_trunc_f32_e32 v7, v7
	s_delay_alu instid0(VALU_DEP_1) | instskip(SKIP_1) | instid1(VALU_DEP_2)
	v_fmac_f32_e32 v4, 0xcf800000, v7
	v_cvt_u32_f32_e32 v7, v7
	v_cvt_u32_f32_e32 v4, v4
	s_delay_alu instid0(VALU_DEP_2) | instskip(NEXT) | instid1(VALU_DEP_2)
	v_mul_lo_u32 v8, s2, v7
	v_mul_hi_u32 v9, s2, v4
	v_mul_lo_u32 v10, s30, v4
	s_delay_alu instid0(VALU_DEP_2) | instskip(SKIP_1) | instid1(VALU_DEP_2)
	v_add_nc_u32_e32 v8, v9, v8
	v_mul_lo_u32 v9, s2, v4
	v_add_nc_u32_e32 v8, v8, v10
	s_delay_alu instid0(VALU_DEP_2) | instskip(NEXT) | instid1(VALU_DEP_2)
	v_mul_hi_u32 v10, v4, v9
	v_mul_lo_u32 v11, v4, v8
	v_mul_hi_u32 v12, v4, v8
	v_mul_hi_u32 v13, v7, v9
	v_mul_lo_u32 v9, v7, v9
	v_mul_hi_u32 v14, v7, v8
	v_mul_lo_u32 v8, v7, v8
	v_add_co_u32 v10, vcc_lo, v10, v11
	v_add_co_ci_u32_e32 v11, vcc_lo, 0, v12, vcc_lo
	s_delay_alu instid0(VALU_DEP_2) | instskip(NEXT) | instid1(VALU_DEP_2)
	v_add_co_u32 v9, vcc_lo, v10, v9
	v_add_co_ci_u32_e32 v9, vcc_lo, v11, v13, vcc_lo
	v_add_co_ci_u32_e32 v10, vcc_lo, 0, v14, vcc_lo
	s_delay_alu instid0(VALU_DEP_2) | instskip(NEXT) | instid1(VALU_DEP_2)
	v_add_co_u32 v8, vcc_lo, v9, v8
	v_add_co_ci_u32_e32 v9, vcc_lo, 0, v10, vcc_lo
	s_delay_alu instid0(VALU_DEP_2) | instskip(NEXT) | instid1(VALU_DEP_2)
	v_add_co_u32 v4, vcc_lo, v4, v8
	v_add_co_ci_u32_e32 v7, vcc_lo, v7, v9, vcc_lo
	s_delay_alu instid0(VALU_DEP_2) | instskip(SKIP_1) | instid1(VALU_DEP_3)
	v_mul_hi_u32 v8, s2, v4
	v_mul_lo_u32 v10, s30, v4
	v_mul_lo_u32 v9, s2, v7
	s_delay_alu instid0(VALU_DEP_1) | instskip(SKIP_1) | instid1(VALU_DEP_2)
	v_add_nc_u32_e32 v8, v8, v9
	v_mul_lo_u32 v9, s2, v4
	v_add_nc_u32_e32 v8, v8, v10
	s_delay_alu instid0(VALU_DEP_2) | instskip(NEXT) | instid1(VALU_DEP_2)
	v_mul_hi_u32 v10, v4, v9
	v_mul_lo_u32 v11, v4, v8
	v_mul_hi_u32 v12, v4, v8
	v_mul_hi_u32 v13, v7, v9
	v_mul_lo_u32 v9, v7, v9
	v_mul_hi_u32 v14, v7, v8
	v_mul_lo_u32 v8, v7, v8
	v_add_co_u32 v10, vcc_lo, v10, v11
	v_add_co_ci_u32_e32 v11, vcc_lo, 0, v12, vcc_lo
	s_delay_alu instid0(VALU_DEP_2) | instskip(NEXT) | instid1(VALU_DEP_2)
	v_add_co_u32 v9, vcc_lo, v10, v9
	v_add_co_ci_u32_e32 v9, vcc_lo, v11, v13, vcc_lo
	v_add_co_ci_u32_e32 v10, vcc_lo, 0, v14, vcc_lo
	s_delay_alu instid0(VALU_DEP_2) | instskip(NEXT) | instid1(VALU_DEP_2)
	v_add_co_u32 v8, vcc_lo, v9, v8
	v_add_co_ci_u32_e32 v9, vcc_lo, 0, v10, vcc_lo
	s_delay_alu instid0(VALU_DEP_2) | instskip(NEXT) | instid1(VALU_DEP_2)
	v_add_co_u32 v4, vcc_lo, v4, v8
	v_add_co_ci_u32_e32 v13, vcc_lo, v7, v9, vcc_lo
	s_delay_alu instid0(VALU_DEP_2) | instskip(SKIP_1) | instid1(VALU_DEP_3)
	v_mul_hi_u32 v14, v5, v4
	v_mad_u64_u32 v[9:10], null, v6, v4, 0
	v_mad_u64_u32 v[7:8], null, v5, v13, 0
	;; [unrolled: 1-line block ×3, first 2 shown]
	s_delay_alu instid0(VALU_DEP_2) | instskip(NEXT) | instid1(VALU_DEP_3)
	v_add_co_u32 v4, vcc_lo, v14, v7
	v_add_co_ci_u32_e32 v7, vcc_lo, 0, v8, vcc_lo
	s_delay_alu instid0(VALU_DEP_2) | instskip(NEXT) | instid1(VALU_DEP_2)
	v_add_co_u32 v4, vcc_lo, v4, v9
	v_add_co_ci_u32_e32 v4, vcc_lo, v7, v10, vcc_lo
	v_add_co_ci_u32_e32 v7, vcc_lo, 0, v12, vcc_lo
	s_delay_alu instid0(VALU_DEP_2) | instskip(NEXT) | instid1(VALU_DEP_2)
	v_add_co_u32 v4, vcc_lo, v4, v11
	v_add_co_ci_u32_e32 v9, vcc_lo, 0, v7, vcc_lo
	s_delay_alu instid0(VALU_DEP_2) | instskip(SKIP_1) | instid1(VALU_DEP_3)
	v_mul_lo_u32 v10, s29, v4
	v_mad_u64_u32 v[7:8], null, s28, v4, 0
	v_mul_lo_u32 v11, s28, v9
	s_delay_alu instid0(VALU_DEP_2) | instskip(NEXT) | instid1(VALU_DEP_2)
	v_sub_co_u32 v7, vcc_lo, v5, v7
	v_add3_u32 v8, v8, v11, v10
	s_delay_alu instid0(VALU_DEP_1) | instskip(NEXT) | instid1(VALU_DEP_1)
	v_sub_nc_u32_e32 v10, v6, v8
	v_subrev_co_ci_u32_e64 v10, s2, s29, v10, vcc_lo
	v_add_co_u32 v11, s2, v4, 2
	s_delay_alu instid0(VALU_DEP_1) | instskip(SKIP_3) | instid1(VALU_DEP_3)
	v_add_co_ci_u32_e64 v12, s2, 0, v9, s2
	v_sub_co_u32 v13, s2, v7, s28
	v_sub_co_ci_u32_e32 v8, vcc_lo, v6, v8, vcc_lo
	v_subrev_co_ci_u32_e64 v10, s2, 0, v10, s2
	v_cmp_le_u32_e32 vcc_lo, s28, v13
	s_delay_alu instid0(VALU_DEP_3) | instskip(SKIP_1) | instid1(VALU_DEP_4)
	v_cmp_eq_u32_e64 s2, s29, v8
	v_cndmask_b32_e64 v13, 0, -1, vcc_lo
	v_cmp_le_u32_e32 vcc_lo, s29, v10
	v_cndmask_b32_e64 v14, 0, -1, vcc_lo
	v_cmp_le_u32_e32 vcc_lo, s28, v7
	;; [unrolled: 2-line block ×3, first 2 shown]
	v_cndmask_b32_e64 v15, 0, -1, vcc_lo
	v_cmp_eq_u32_e32 vcc_lo, s29, v10
	s_delay_alu instid0(VALU_DEP_2) | instskip(SKIP_3) | instid1(VALU_DEP_3)
	v_cndmask_b32_e64 v7, v15, v7, s2
	v_cndmask_b32_e32 v10, v14, v13, vcc_lo
	v_add_co_u32 v13, vcc_lo, v4, 1
	v_add_co_ci_u32_e32 v14, vcc_lo, 0, v9, vcc_lo
	v_cmp_ne_u32_e32 vcc_lo, 0, v10
	s_delay_alu instid0(VALU_DEP_2) | instskip(NEXT) | instid1(VALU_DEP_4)
	v_cndmask_b32_e32 v8, v14, v12, vcc_lo
	v_cndmask_b32_e32 v10, v13, v11, vcc_lo
	v_cmp_ne_u32_e32 vcc_lo, 0, v7
	s_delay_alu instid0(VALU_DEP_2)
	v_dual_cndmask_b32 v85, v9, v8 :: v_dual_cndmask_b32 v84, v4, v10
.LBB0_4:                                ;   in Loop: Header=BB0_2 Depth=1
	s_and_not1_saveexec_b32 s2, s3
	s_cbranch_execz .LBB0_6
; %bb.5:                                ;   in Loop: Header=BB0_2 Depth=1
	v_cvt_f32_u32_e32 v4, s28
	s_sub_i32 s3, 0, s28
	v_mov_b32_e32 v85, v3
	s_delay_alu instid0(VALU_DEP_2) | instskip(SKIP_2) | instid1(VALU_DEP_1)
	v_rcp_iflag_f32_e32 v4, v4
	s_waitcnt_depctr 0xfff
	v_mul_f32_e32 v4, 0x4f7ffffe, v4
	v_cvt_u32_f32_e32 v4, v4
	s_delay_alu instid0(VALU_DEP_1) | instskip(NEXT) | instid1(VALU_DEP_1)
	v_mul_lo_u32 v7, s3, v4
	v_mul_hi_u32 v7, v4, v7
	s_delay_alu instid0(VALU_DEP_1) | instskip(NEXT) | instid1(VALU_DEP_1)
	v_add_nc_u32_e32 v4, v4, v7
	v_mul_hi_u32 v4, v5, v4
	s_delay_alu instid0(VALU_DEP_1) | instskip(SKIP_1) | instid1(VALU_DEP_2)
	v_mul_lo_u32 v7, v4, s28
	v_add_nc_u32_e32 v8, 1, v4
	v_sub_nc_u32_e32 v7, v5, v7
	s_delay_alu instid0(VALU_DEP_1) | instskip(SKIP_1) | instid1(VALU_DEP_2)
	v_subrev_nc_u32_e32 v9, s28, v7
	v_cmp_le_u32_e32 vcc_lo, s28, v7
	v_dual_cndmask_b32 v7, v7, v9 :: v_dual_cndmask_b32 v4, v4, v8
	s_delay_alu instid0(VALU_DEP_1) | instskip(NEXT) | instid1(VALU_DEP_2)
	v_cmp_le_u32_e32 vcc_lo, s28, v7
	v_add_nc_u32_e32 v8, 1, v4
	s_delay_alu instid0(VALU_DEP_1)
	v_cndmask_b32_e32 v84, v4, v8, vcc_lo
.LBB0_6:                                ;   in Loop: Header=BB0_2 Depth=1
	s_or_b32 exec_lo, exec_lo, s2
	s_delay_alu instid0(VALU_DEP_1) | instskip(NEXT) | instid1(VALU_DEP_2)
	v_mul_lo_u32 v4, v85, s28
	v_mul_lo_u32 v9, v84, s29
	s_load_b64 s[2:3], s[22:23], 0x0
	v_mad_u64_u32 v[7:8], null, v84, s28, 0
	s_load_b64 s[28:29], s[14:15], 0x0
	s_add_u32 s26, s26, 1
	s_addc_u32 s27, s27, 0
	s_add_u32 s14, s14, 8
	s_addc_u32 s15, s15, 0
	s_add_u32 s22, s22, 8
	s_delay_alu instid0(VALU_DEP_1) | instskip(SKIP_3) | instid1(VALU_DEP_2)
	v_add3_u32 v4, v8, v9, v4
	v_sub_co_u32 v8, vcc_lo, v5, v7
	s_addc_u32 s23, s23, 0
	s_add_u32 s24, s24, 8
	v_sub_co_ci_u32_e32 v6, vcc_lo, v6, v4, vcc_lo
	s_addc_u32 s25, s25, 0
	s_waitcnt lgkmcnt(0)
	s_delay_alu instid0(VALU_DEP_1)
	v_mul_lo_u32 v9, s2, v6
	v_mul_lo_u32 v10, s3, v8
	v_mad_u64_u32 v[4:5], null, s2, v8, v[1:2]
	v_mul_lo_u32 v11, s28, v6
	v_mul_lo_u32 v12, s29, v8
	v_mad_u64_u32 v[6:7], null, s28, v8, v[80:81]
	v_cmp_ge_u64_e64 s2, s[26:27], s[10:11]
	v_add3_u32 v2, v10, v5, v9
	s_delay_alu instid0(VALU_DEP_3) | instskip(NEXT) | instid1(VALU_DEP_4)
	v_dual_mov_b32 v1, v4 :: v_dual_mov_b32 v80, v6
	v_add3_u32 v81, v12, v7, v11
	s_delay_alu instid0(VALU_DEP_4)
	s_and_b32 vcc_lo, exec_lo, s2
	s_cbranch_vccnz .LBB0_9
; %bb.7:                                ;   in Loop: Header=BB0_2 Depth=1
	v_dual_mov_b32 v5, v84 :: v_dual_mov_b32 v6, v85
	s_branch .LBB0_2
.LBB0_8:
	s_delay_alu instid0(VALU_DEP_2) | instskip(NEXT) | instid1(VALU_DEP_2)
	v_dual_mov_b32 v81, v2 :: v_dual_mov_b32 v80, v1
	v_dual_mov_b32 v85, v6 :: v_dual_mov_b32 v84, v5
.LBB0_9:
	s_load_b64 s[0:1], s[0:1], 0x28
	v_mul_hi_u32 v3, 0x4924925, v0
	s_lshl_b64 s[10:11], s[10:11], 3
                                        ; implicit-def: $vgpr82
                                        ; implicit-def: $vgpr86
	s_delay_alu instid0(SALU_CYCLE_1) | instskip(SKIP_4) | instid1(VALU_DEP_1)
	s_add_u32 s2, s18, s10
	s_addc_u32 s3, s19, s11
	s_waitcnt lgkmcnt(0)
	v_cmp_gt_u64_e32 vcc_lo, s[0:1], v[84:85]
	v_cmp_le_u64_e64 s0, s[0:1], v[84:85]
	s_and_saveexec_b32 s1, s0
	s_delay_alu instid0(SALU_CYCLE_1)
	s_xor_b32 s0, exec_lo, s1
; %bb.10:
	v_mul_u32_u24_e32 v1, 56, v3
                                        ; implicit-def: $vgpr3
	s_delay_alu instid0(VALU_DEP_1) | instskip(NEXT) | instid1(VALU_DEP_1)
	v_sub_nc_u32_e32 v82, v0, v1
                                        ; implicit-def: $vgpr0
                                        ; implicit-def: $vgpr1_vgpr2
	v_add_nc_u32_e32 v86, 56, v82
; %bb.11:
	s_and_not1_saveexec_b32 s1, s0
	s_cbranch_execz .LBB0_13
; %bb.12:
	s_add_u32 s10, s16, s10
	s_addc_u32 s11, s17, s11
	v_mul_u32_u24_e32 v3, 56, v3
	s_load_b64 s[10:11], s[10:11], 0x0
	v_lshlrev_b64 v[1:2], 4, v[1:2]
	s_delay_alu instid0(VALU_DEP_2) | instskip(NEXT) | instid1(VALU_DEP_1)
	v_sub_nc_u32_e32 v82, v0, v3
	v_mad_u64_u32 v[3:4], null, s20, v82, 0
	v_add_nc_u32_e32 v86, 56, v82
	v_add_nc_u32_e32 v17, 0x70, v82
	;; [unrolled: 1-line block ×5, first 2 shown]
	v_mad_u64_u32 v[5:6], null, s20, v86, 0
	v_mov_b32_e32 v0, v4
	v_mad_u64_u32 v[7:8], null, s20, v17, 0
	s_waitcnt lgkmcnt(0)
	v_mul_lo_u32 v4, s11, v84
	v_mul_lo_u32 v15, s10, v85
	v_mad_u64_u32 v[11:12], null, s10, v84, 0
	v_mad_u64_u32 v[9:10], null, s20, v18, 0
	;; [unrolled: 1-line block ×3, first 2 shown]
	v_dual_mov_b32 v0, v6 :: v_dual_add_nc_u32 v27, 0x150, v82
	s_delay_alu instid0(VALU_DEP_4) | instskip(SKIP_2) | instid1(VALU_DEP_4)
	v_add3_u32 v12, v12, v15, v4
	v_dual_mov_b32 v6, v8 :: v_dual_add_nc_u32 v33, 0x1f8, v82
	v_mov_b32_e32 v8, v10
	v_mad_u64_u32 v[14:15], null, s21, v86, v[0:1]
	s_delay_alu instid0(VALU_DEP_4) | instskip(NEXT) | instid1(VALU_DEP_4)
	v_lshlrev_b64 v[10:11], 4, v[11:12]
	v_mad_u64_u32 v[15:16], null, s21, v17, v[6:7]
	v_mov_b32_e32 v4, v13
	v_mad_u64_u32 v[12:13], null, s21, v18, v[8:9]
	s_delay_alu instid0(VALU_DEP_4)
	v_add_co_u32 v0, s0, s4, v10
	v_mov_b32_e32 v6, v14
	v_add_co_ci_u32_e64 v10, s0, s5, v11, s0
	v_lshlrev_b64 v[3:4], 4, v[3:4]
	v_mov_b32_e32 v8, v15
	v_add_co_u32 v37, s0, v0, v1
	v_mad_u64_u32 v[16:17], null, s20, v20, 0
	v_add_co_ci_u32_e64 v38, s0, v10, v2, s0
	v_lshlrev_b64 v[0:1], 4, v[5:6]
	v_mov_b32_e32 v10, v12
	v_add_co_u32 v2, s0, v37, v3
	v_lshlrev_b64 v[13:14], 4, v[7:8]
	v_mad_u64_u32 v[18:19], null, s20, v24, 0
	v_add_co_ci_u32_e64 v3, s0, v38, v4, s0
	v_lshlrev_b64 v[9:10], 4, v[9:10]
	v_add_co_u32 v4, s0, v37, v0
	v_mov_b32_e32 v8, v17
	v_add_co_ci_u32_e64 v5, s0, v38, v1, s0
	v_add_co_u32 v11, s0, v37, v13
	s_delay_alu instid0(VALU_DEP_1) | instskip(NEXT) | instid1(VALU_DEP_4)
	v_add_co_ci_u32_e64 v12, s0, v38, v14, s0
	v_mad_u64_u32 v[13:14], null, s21, v20, v[8:9]
	v_mov_b32_e32 v8, v19
	v_add_nc_u32_e32 v30, 0x188, v82
	v_mad_u64_u32 v[20:21], null, s20, v27, 0
	v_or_b32_e32 v31, 0x1c0, v82
	s_delay_alu instid0(VALU_DEP_4) | instskip(NEXT) | instid1(VALU_DEP_4)
	v_mad_u64_u32 v[22:23], null, s21, v24, v[8:9]
	v_mad_u64_u32 v[23:24], null, s20, v30, 0
	v_mov_b32_e32 v17, v13
	v_add_co_u32 v14, s0, v37, v9
	s_delay_alu instid0(VALU_DEP_1)
	v_add_co_ci_u32_e64 v15, s0, v38, v10, s0
	v_mad_u64_u32 v[25:26], null, s21, v27, v[21:22]
	v_mov_b32_e32 v21, v24
	v_mad_u64_u32 v[26:27], null, s20, v31, 0
	v_mov_b32_e32 v19, v22
	v_lshlrev_b64 v[16:17], 4, v[16:17]
	s_delay_alu instid0(VALU_DEP_4)
	v_mad_u64_u32 v[28:29], null, s21, v30, v[21:22]
	v_mov_b32_e32 v21, v25
	v_mad_u64_u32 v[29:30], null, s20, v33, 0
	v_mov_b32_e32 v22, v27
	v_lshlrev_b64 v[18:19], 4, v[18:19]
	v_add_co_u32 v16, s0, v37, v16
	v_mov_b32_e32 v24, v28
	s_delay_alu instid0(VALU_DEP_4) | instskip(SKIP_3) | instid1(VALU_DEP_1)
	v_mad_u64_u32 v[27:28], null, s21, v31, v[22:23]
	v_mov_b32_e32 v22, v30
	v_add_co_ci_u32_e64 v17, s0, v38, v17, s0
	v_add_co_u32 v31, s0, v37, v18
	v_add_co_ci_u32_e64 v32, s0, v38, v19, s0
	v_lshlrev_b64 v[18:19], 4, v[20:21]
	v_mad_u64_u32 v[20:21], null, s21, v33, v[22:23]
	v_lshlrev_b64 v[21:22], 4, v[23:24]
	s_clause 0x3
	global_load_b128 v[0:3], v[2:3], off
	global_load_b128 v[4:7], v[4:5], off
	global_load_b128 v[8:11], v[11:12], off
	global_load_b128 v[12:15], v[14:15], off
	v_add_co_u32 v24, s0, v37, v18
	s_delay_alu instid0(VALU_DEP_1) | instskip(SKIP_3) | instid1(VALU_DEP_1)
	v_add_co_ci_u32_e64 v25, s0, v38, v19, s0
	v_mov_b32_e32 v30, v20
	v_lshlrev_b64 v[18:19], 4, v[26:27]
	v_add_co_u32 v33, s0, v37, v21
	v_add_co_ci_u32_e64 v34, s0, v38, v22, s0
	s_delay_alu instid0(VALU_DEP_4) | instskip(NEXT) | instid1(VALU_DEP_4)
	v_lshlrev_b64 v[20:21], 4, v[29:30]
	v_add_co_u32 v35, s0, v37, v18
	s_delay_alu instid0(VALU_DEP_1) | instskip(SKIP_1) | instid1(VALU_DEP_4)
	v_add_co_ci_u32_e64 v36, s0, v38, v19, s0
	v_lshl_add_u32 v40, v82, 4, 0
	v_add_co_u32 v37, s0, v37, v20
	s_delay_alu instid0(VALU_DEP_1)
	v_add_co_ci_u32_e64 v38, s0, v38, v21, s0
	s_clause 0x5
	global_load_b128 v[16:19], v[16:17], off
	global_load_b128 v[20:23], v[31:32], off
	;; [unrolled: 1-line block ×6, first 2 shown]
	s_waitcnt vmcnt(9)
	ds_store_b128 v40, v[0:3]
	s_waitcnt vmcnt(8)
	ds_store_b128 v40, v[4:7] offset:896
	s_waitcnt vmcnt(7)
	ds_store_b128 v40, v[8:11] offset:1792
	;; [unrolled: 2-line block ×9, first 2 shown]
.LBB0_13:
	s_or_b32 exec_lo, exec_lo, s1
	v_lshl_add_u32 v88, v82, 4, 0
	s_load_b64 s[2:3], s[2:3], 0x0
	s_waitcnt lgkmcnt(0)
	s_barrier
	buffer_gl0_inv
	ds_load_b128 v[0:3], v88 offset:4480
	ds_load_b128 v[4:7], v88
	ds_load_b128 v[8:11], v88 offset:2240
	ds_load_b128 v[12:15], v88 offset:6720
	ds_load_b128 v[16:19], v88 offset:1120
	ds_load_b128 v[20:23], v88 offset:5600
	ds_load_b128 v[24:27], v88 offset:3360
	ds_load_b128 v[28:31], v88 offset:7840
	ds_load_b128 v[32:35], v88 offset:896
	ds_load_b128 v[36:39], v88 offset:5376
	ds_load_b128 v[40:43], v88 offset:3136
	ds_load_b128 v[44:47], v88 offset:7616
	ds_load_b128 v[48:51], v88 offset:2016
	ds_load_b128 v[52:55], v88 offset:6496
	ds_load_b128 v[56:59], v88 offset:4256
	ds_load_b128 v[60:63], v88 offset:8736
	s_mov_b32 s0, 0x667f3bcd
	s_mov_b32 s1, 0xbfe6a09e
	;; [unrolled: 1-line block ×4, first 2 shown]
	s_waitcnt lgkmcnt(0)
	v_add_f64 v[0:1], v[4:5], -v[0:1]
	v_add_f64 v[2:3], v[6:7], -v[2:3]
	;; [unrolled: 1-line block ×16, first 2 shown]
	s_barrier
	buffer_gl0_inv
	v_fma_f64 v[4:5], v[4:5], 2.0, -v[0:1]
	v_fma_f64 v[6:7], v[6:7], 2.0, -v[2:3]
	;; [unrolled: 1-line block ×8, first 2 shown]
	v_add_f64 v[14:15], v[0:1], -v[14:15]
	v_add_f64 v[12:13], v[2:3], v[12:13]
	v_add_f64 v[30:31], v[20:21], -v[30:31]
	v_add_f64 v[28:29], v[22:23], v[28:29]
	v_fma_f64 v[32:33], v[32:33], 2.0, -v[36:37]
	v_fma_f64 v[34:35], v[34:35], 2.0, -v[38:39]
	;; [unrolled: 1-line block ×6, first 2 shown]
	v_add_f64 v[64:65], v[36:37], -v[46:47]
	v_add_f64 v[66:67], v[38:39], v[44:45]
	v_fma_f64 v[44:45], v[56:57], 2.0, -v[60:61]
	v_fma_f64 v[46:47], v[58:59], 2.0, -v[62:63]
	v_add_f64 v[56:57], v[52:53], -v[62:63]
	v_add_f64 v[58:59], v[54:55], v[60:61]
	v_add_f64 v[8:9], v[4:5], -v[8:9]
	v_add_f64 v[10:11], v[6:7], -v[10:11]
	v_fma_f64 v[60:61], v[0:1], 2.0, -v[14:15]
	v_fma_f64 v[62:63], v[2:3], 2.0, -v[12:13]
	v_add_f64 v[0:1], v[16:17], -v[24:25]
	v_add_f64 v[2:3], v[18:19], -v[26:27]
	v_fma_f64 v[20:21], v[20:21], 2.0, -v[30:31]
	v_fma_f64 v[22:23], v[22:23], 2.0, -v[28:29]
	v_add_f64 v[68:69], v[32:33], -v[40:41]
	v_add_f64 v[70:71], v[34:35], -v[42:43]
	v_fma_f64 v[40:41], v[30:31], s[4:5], v[14:15]
	v_fma_f64 v[42:43], v[28:29], s[4:5], v[12:13]
	v_fma_f64 v[72:73], v[36:37], 2.0, -v[64:65]
	v_fma_f64 v[74:75], v[38:39], 2.0, -v[66:67]
	v_add_f64 v[24:25], v[48:49], -v[44:45]
	v_add_f64 v[26:27], v[50:51], -v[46:47]
	v_fma_f64 v[52:53], v[52:53], 2.0, -v[56:57]
	v_fma_f64 v[54:55], v[54:55], 2.0, -v[58:59]
	v_fma_f64 v[44:45], v[56:57], s[4:5], v[64:65]
	v_fma_f64 v[46:47], v[58:59], s[4:5], v[66:67]
	v_fma_f64 v[4:5], v[4:5], 2.0, -v[8:9]
	v_fma_f64 v[6:7], v[6:7], 2.0, -v[10:11]
	v_fma_f64 v[16:17], v[16:17], 2.0, -v[0:1]
	v_fma_f64 v[18:19], v[18:19], 2.0, -v[2:3]
	v_fma_f64 v[76:77], v[20:21], s[0:1], v[60:61]
	v_fma_f64 v[78:79], v[22:23], s[0:1], v[62:63]
	v_fma_f64 v[89:90], v[32:33], 2.0, -v[68:69]
	v_fma_f64 v[91:92], v[34:35], 2.0, -v[70:71]
	v_add_f64 v[36:37], v[8:9], -v[2:3]
	v_add_f64 v[38:39], v[10:11], v[0:1]
	v_fma_f64 v[0:1], v[28:29], s[0:1], v[40:41]
	v_fma_f64 v[2:3], v[30:31], s[4:5], v[42:43]
	v_fma_f64 v[48:49], v[48:49], 2.0, -v[24:25]
	v_fma_f64 v[50:51], v[50:51], 2.0, -v[26:27]
	v_fma_f64 v[93:94], v[52:53], s[0:1], v[72:73]
	v_fma_f64 v[95:96], v[54:55], s[0:1], v[74:75]
	v_add_f64 v[32:33], v[68:69], -v[26:27]
	v_add_f64 v[34:35], v[70:71], v[24:25]
	v_fma_f64 v[28:29], v[58:59], s[0:1], v[44:45]
	v_fma_f64 v[30:31], v[56:57], s[4:5], v[46:47]
	v_add_f64 v[40:41], v[4:5], -v[16:17]
	v_add_f64 v[42:43], v[6:7], -v[18:19]
	v_fma_f64 v[44:45], v[22:23], s[0:1], v[76:77]
	v_fma_f64 v[46:47], v[20:21], s[4:5], v[78:79]
	v_add_f64 v[20:21], v[89:90], -v[48:49]
	v_add_f64 v[22:23], v[91:92], -v[50:51]
	v_fma_f64 v[24:25], v[54:55], s[0:1], v[93:94]
	v_fma_f64 v[26:27], v[52:53], s[4:5], v[95:96]
	v_fma_f64 v[48:49], v[8:9], 2.0, -v[36:37]
	v_fma_f64 v[50:51], v[10:11], 2.0, -v[38:39]
	;; [unrolled: 1-line block ×8, first 2 shown]
	v_mad_u32_u24 v64, 0x70, v82, v88
	s_mov_b32 s1, exec_lo
	v_fma_f64 v[56:57], v[4:5], 2.0, -v[40:41]
	v_fma_f64 v[58:59], v[6:7], 2.0, -v[42:43]
	;; [unrolled: 1-line block ×4, first 2 shown]
	ds_store_b128 v64, v[48:51] offset:32
	ds_store_b128 v64, v[52:55] offset:48
	;; [unrolled: 1-line block ×4, first 2 shown]
	ds_store_b128 v64, v[56:59]
	ds_store_b128 v64, v[60:63] offset:16
	ds_store_b128 v64, v[36:39] offset:96
	;; [unrolled: 1-line block ×3, first 2 shown]
	v_fma_f64 v[4:5], v[89:90], 2.0, -v[20:21]
	v_fma_f64 v[6:7], v[91:92], 2.0, -v[22:23]
	;; [unrolled: 1-line block ×4, first 2 shown]
	v_cmpx_gt_u32_e32 14, v82
	s_cbranch_execz .LBB0_15
; %bb.14:
	v_lshl_add_u32 v36, v86, 7, 0
	ds_store_b128 v36, v[4:7]
	ds_store_b128 v36, v[12:15] offset:16
	ds_store_b128 v36, v[8:11] offset:32
	;; [unrolled: 1-line block ×7, first 2 shown]
.LBB0_15:
	s_or_b32 exec_lo, exec_lo, s1
	s_waitcnt lgkmcnt(0)
	s_barrier
	buffer_gl0_inv
	ds_load_b128 v[36:39], v88
	ds_load_b128 v[72:75], v88 offset:1280
	ds_load_b128 v[68:71], v88 offset:2560
	;; [unrolled: 1-line block ×6, first 2 shown]
	v_cmp_gt_u32_e64 s0, 24, v82
	v_lshl_add_u32 v89, v86, 4, 0
	s_delay_alu instid0(VALU_DEP_2)
	s_and_saveexec_b32 s1, s0
	s_cbranch_execz .LBB0_17
; %bb.16:
	ds_load_b128 v[0:3], v89
	ds_load_b128 v[4:7], v88 offset:2176
	ds_load_b128 v[12:15], v88 offset:3456
	;; [unrolled: 1-line block ×6, first 2 shown]
.LBB0_17:
	s_or_b32 exec_lo, exec_lo, s1
	v_and_b32_e32 v83, 7, v82
	s_mov_b32 s10, 0x37e14327
	s_mov_b32 s14, 0xe976ee23
	s_mov_b32 s11, 0x3fe948f6
	s_mov_b32 s15, 0xbfe11646
	v_mul_u32_u24_e32 v28, 6, v83
	s_mov_b32 s4, 0x429ad128
	s_mov_b32 s5, 0x3febfeb5
	s_mov_b32 s20, 0x36b3c0b5
	s_mov_b32 s21, 0x3fac98ee
	v_lshlrev_b32_e32 v44, 4, v28
	s_mov_b32 s16, 0xaaaaaaaa
	s_mov_b32 s24, 0xb247c609
	;; [unrolled: 1-line block ×4, first 2 shown]
	s_clause 0x5
	global_load_b128 v[28:31], v44, s[8:9]
	global_load_b128 v[32:35], v44, s[8:9] offset:16
	global_load_b128 v[40:43], v44, s[8:9] offset:80
	;; [unrolled: 1-line block ×5, first 2 shown]
	s_mov_b32 s25, 0x3fd5d0dc
	s_mov_b32 s19, 0x3fe77f67
	;; [unrolled: 1-line block ×8, first 2 shown]
	v_lshrrev_b32_e32 v87, 3, v82
	s_waitcnt vmcnt(0) lgkmcnt(0)
	s_barrier
	buffer_gl0_inv
	v_mul_u32_u24_e32 v87, 56, v87
	s_delay_alu instid0(VALU_DEP_1) | instskip(NEXT) | instid1(VALU_DEP_1)
	v_or_b32_e32 v87, v87, v83
	v_lshl_add_u32 v87, v87, 4, 0
	v_mul_f64 v[90:91], v[74:75], v[30:31]
	v_mul_f64 v[92:93], v[72:73], v[30:31]
	;; [unrolled: 1-line block ×12, first 2 shown]
	v_fma_f64 v[72:73], v[72:73], v[28:29], -v[90:91]
	v_fma_f64 v[74:75], v[74:75], v[28:29], v[92:93]
	v_fma_f64 v[68:69], v[68:69], v[32:33], -v[94:95]
	v_fma_f64 v[70:71], v[70:71], v[32:33], v[96:97]
	;; [unrolled: 2-line block ×6, first 2 shown]
	v_add_f64 v[90:91], v[72:73], v[76:77]
	v_add_f64 v[92:93], v[74:75], v[78:79]
	;; [unrolled: 1-line block ×4, first 2 shown]
	v_add_f64 v[64:65], v[68:69], -v[64:65]
	v_add_f64 v[66:67], v[70:71], -v[66:67]
	v_add_f64 v[68:69], v[60:61], v[56:57]
	v_add_f64 v[70:71], v[62:63], v[58:59]
	v_add_f64 v[56:57], v[56:57], -v[60:61]
	v_add_f64 v[58:59], v[58:59], -v[62:63]
	;; [unrolled: 1-line block ×4, first 2 shown]
	v_add_f64 v[72:73], v[94:95], v[90:91]
	v_add_f64 v[74:75], v[96:97], v[92:93]
	v_add_f64 v[76:77], v[90:91], -v[68:69]
	v_add_f64 v[78:79], v[92:93], -v[70:71]
	v_add_f64 v[98:99], v[56:57], -v[64:65]
	v_add_f64 v[100:101], v[58:59], -v[66:67]
	v_add_f64 v[102:103], v[64:65], -v[60:61]
	v_add_f64 v[104:105], v[66:67], -v[62:63]
	v_add_f64 v[64:65], v[56:57], v[64:65]
	v_add_f64 v[66:67], v[58:59], v[66:67]
	v_add_f64 v[56:57], v[60:61], -v[56:57]
	v_add_f64 v[58:59], v[62:63], -v[58:59]
	;; [unrolled: 1-line block ×4, first 2 shown]
	v_add_f64 v[72:73], v[68:69], v[72:73]
	v_add_f64 v[74:75], v[70:71], v[74:75]
	v_add_f64 v[68:69], v[68:69], -v[94:95]
	v_add_f64 v[70:71], v[70:71], -v[96:97]
	v_mul_f64 v[76:77], v[76:77], s[10:11]
	v_mul_f64 v[78:79], v[78:79], s[10:11]
	;; [unrolled: 1-line block ×6, first 2 shown]
	v_add_f64 v[60:61], v[64:65], v[60:61]
	v_add_f64 v[62:63], v[66:67], v[62:63]
	;; [unrolled: 1-line block ×4, first 2 shown]
	v_mul_f64 v[94:95], v[68:69], s[20:21]
	v_mul_f64 v[96:97], v[70:71], s[20:21]
	v_fma_f64 v[64:65], v[68:69], s[20:21], v[76:77]
	v_fma_f64 v[66:67], v[70:71], s[20:21], v[78:79]
	;; [unrolled: 1-line block ×4, first 2 shown]
	v_fma_f64 v[98:99], v[102:103], s[4:5], -v[98:99]
	v_fma_f64 v[100:101], v[104:105], s[4:5], -v[100:101]
	;; [unrolled: 1-line block ×6, first 2 shown]
	v_fma_f64 v[72:73], v[72:73], s[16:17], v[36:37]
	v_fma_f64 v[74:75], v[74:75], s[16:17], v[38:39]
	v_fma_f64 v[90:91], v[90:91], s[18:19], -v[94:95]
	v_fma_f64 v[92:93], v[92:93], s[18:19], -v[96:97]
	v_fma_f64 v[94:95], v[60:61], s[28:29], v[68:69]
	v_fma_f64 v[96:97], v[62:63], s[28:29], v[70:71]
	;; [unrolled: 1-line block ×6, first 2 shown]
	v_add_f64 v[102:103], v[64:65], v[72:73]
	v_add_f64 v[104:105], v[66:67], v[74:75]
	;; [unrolled: 1-line block ×7, first 2 shown]
	v_add_f64 v[58:59], v[104:105], -v[94:95]
	v_add_f64 v[60:61], v[100:101], v[76:77]
	v_add_f64 v[62:63], v[78:79], -v[98:99]
	v_add_f64 v[64:65], v[72:73], -v[68:69]
	v_add_f64 v[66:67], v[70:71], v[74:75]
	v_add_f64 v[68:69], v[68:69], v[72:73]
	v_add_f64 v[70:71], v[74:75], -v[70:71]
	v_add_f64 v[72:73], v[76:77], -v[100:101]
	v_add_f64 v[74:75], v[98:99], v[78:79]
	v_add_f64 v[76:77], v[102:103], -v[96:97]
	v_add_f64 v[78:79], v[94:95], v[104:105]
	ds_store_b128 v87, v[36:39]
	ds_store_b128 v87, v[56:59] offset:128
	ds_store_b128 v87, v[60:63] offset:256
	;; [unrolled: 1-line block ×6, first 2 shown]
	s_and_saveexec_b32 s1, s0
	s_cbranch_execz .LBB0_19
; %bb.18:
	v_mul_f64 v[36:37], v[12:13], v[34:35]
	v_mul_f64 v[38:39], v[20:21], v[54:55]
	;; [unrolled: 1-line block ×12, first 2 shown]
	v_fma_f64 v[14:15], v[14:15], v[32:33], v[36:37]
	v_fma_f64 v[22:23], v[22:23], v[52:53], v[38:39]
	;; [unrolled: 1-line block ×4, first 2 shown]
	v_fma_f64 v[12:13], v[12:13], v[32:33], -v[34:35]
	v_fma_f64 v[20:21], v[20:21], v[52:53], -v[54:55]
	;; [unrolled: 1-line block ×6, first 2 shown]
	v_fma_f64 v[10:11], v[10:11], v[48:49], v[50:51]
	v_fma_f64 v[18:19], v[18:19], v[44:45], v[46:47]
	v_add_f64 v[28:29], v[14:15], v[22:23]
	v_add_f64 v[14:15], v[14:15], -v[22:23]
	v_add_f64 v[30:31], v[6:7], v[26:27]
	v_add_f64 v[6:7], v[6:7], -v[26:27]
	;; [unrolled: 2-line block ×4, first 2 shown]
	v_add_f64 v[36:37], v[16:17], -v[8:9]
	v_add_f64 v[8:9], v[8:9], v[16:17]
	v_add_f64 v[20:21], v[10:11], v[18:19]
	v_add_f64 v[10:11], v[18:19], -v[10:11]
	v_add_f64 v[16:17], v[28:29], v[30:31]
	v_add_f64 v[42:43], v[14:15], -v[6:7]
	;; [unrolled: 2-line block ×3, first 2 shown]
	v_add_f64 v[22:23], v[36:37], -v[12:13]
	v_add_f64 v[26:27], v[34:35], -v[8:9]
	;; [unrolled: 1-line block ×4, first 2 shown]
	v_add_f64 v[12:13], v[36:37], v[12:13]
	v_add_f64 v[36:37], v[4:5], -v[36:37]
	v_add_f64 v[14:15], v[10:11], v[14:15]
	v_add_f64 v[10:11], v[6:7], -v[10:11]
	v_add_f64 v[16:17], v[20:21], v[16:17]
	v_add_f64 v[20:21], v[20:21], -v[28:29]
	v_add_f64 v[28:29], v[28:29], -v[30:31]
	v_mul_f64 v[46:47], v[42:43], s[4:5]
	v_add_f64 v[18:19], v[8:9], v[18:19]
	v_add_f64 v[8:9], v[8:9], -v[32:33]
	v_mul_f64 v[22:23], v[22:23], s[14:15]
	v_mul_f64 v[26:27], v[26:27], s[10:11]
	;; [unrolled: 1-line block ×5, first 2 shown]
	v_add_f64 v[32:33], v[32:33], -v[34:35]
	v_add_f64 v[4:5], v[12:13], v[4:5]
	v_add_f64 v[6:7], v[14:15], v[6:7]
	;; [unrolled: 1-line block ×3, first 2 shown]
	v_mul_f64 v[30:31], v[20:21], s[20:21]
	v_add_f64 v[0:1], v[0:1], v[18:19]
	v_mul_f64 v[34:35], v[8:9], s[20:21]
	v_fma_f64 v[12:13], v[36:37], s[24:25], v[22:23]
	v_fma_f64 v[8:9], v[8:9], s[20:21], v[26:27]
	;; [unrolled: 1-line block ×3, first 2 shown]
	v_fma_f64 v[20:21], v[36:37], s[26:27], -v[44:45]
	v_fma_f64 v[22:23], v[38:39], s[4:5], -v[22:23]
	v_fma_f64 v[24:25], v[28:29], s[22:23], -v[24:25]
	v_fma_f64 v[26:27], v[32:33], s[22:23], -v[26:27]
	v_fma_f64 v[36:37], v[42:43], s[4:5], -v[40:41]
	v_fma_f64 v[16:17], v[16:17], s[16:17], v[2:3]
	v_fma_f64 v[28:29], v[28:29], s[18:19], -v[30:31]
	v_fma_f64 v[30:31], v[10:11], s[24:25], v[40:41]
	v_fma_f64 v[10:11], v[10:11], s[26:27], -v[46:47]
	;; [unrolled: 2-line block ×3, first 2 shown]
	v_fma_f64 v[12:13], v[4:5], s[28:29], v[12:13]
	v_fma_f64 v[20:21], v[4:5], s[28:29], v[20:21]
	;; [unrolled: 1-line block ×4, first 2 shown]
	v_add_f64 v[34:35], v[14:15], v[16:17]
	v_add_f64 v[22:23], v[24:25], v[16:17]
	;; [unrolled: 1-line block ×3, first 2 shown]
	v_fma_f64 v[28:29], v[6:7], s[28:29], v[30:31]
	v_add_f64 v[38:39], v[8:9], v[18:19]
	v_fma_f64 v[30:31], v[6:7], s[28:29], v[10:11]
	v_add_f64 v[8:9], v[26:27], v[18:19]
	v_add_f64 v[32:33], v[32:33], v[18:19]
	v_add_f64 v[26:27], v[34:35], -v[12:13]
	v_add_f64 v[10:11], v[20:21], v[22:23]
	v_add_f64 v[22:23], v[22:23], -v[20:21]
	v_add_f64 v[14:15], v[16:17], -v[4:5]
	v_add_f64 v[24:25], v[28:29], v[38:39]
	v_add_f64 v[18:19], v[4:5], v[16:17]
	;; [unrolled: 1-line block ×3, first 2 shown]
	v_add_f64 v[16:17], v[32:33], -v[36:37]
	v_add_f64 v[6:7], v[12:13], v[34:35]
	v_add_f64 v[12:13], v[36:37], v[32:33]
	v_add_f64 v[8:9], v[8:9], -v[30:31]
	v_add_f64 v[4:5], v[38:39], -v[28:29]
	v_lshrrev_b32_e32 v28, 3, v86
	s_delay_alu instid0(VALU_DEP_1) | instskip(NEXT) | instid1(VALU_DEP_1)
	v_mul_lo_u32 v28, v28, 56
	v_or_b32_e32 v28, v28, v83
	s_delay_alu instid0(VALU_DEP_1)
	v_lshl_add_u32 v28, v28, 4, 0
	ds_store_b128 v28, v[0:3]
	ds_store_b128 v28, v[24:27] offset:128
	ds_store_b128 v28, v[20:23] offset:256
	ds_store_b128 v28, v[16:19] offset:384
	ds_store_b128 v28, v[12:15] offset:512
	ds_store_b128 v28, v[8:11] offset:640
	ds_store_b128 v28, v[4:7] offset:768
.LBB0_19:
	s_or_b32 exec_lo, exec_lo, s1
	v_dual_mov_b32 v1, 0 :: v_dual_lshlrev_b32 v0, 2, v82
	s_waitcnt lgkmcnt(0)
	s_barrier
	buffer_gl0_inv
	s_mov_b32 s5, 0xbfee6f0e
	v_lshlrev_b64 v[2:3], 4, v[0:1]
	v_mov_b32_e32 v83, v1
	v_mov_b32_e32 v87, v1
	s_delay_alu instid0(VALU_DEP_2) | instskip(NEXT) | instid1(VALU_DEP_4)
	v_lshlrev_b64 v[0:1], 4, v[82:83]
	v_add_co_u32 v14, s0, s8, v2
	s_delay_alu instid0(VALU_DEP_1)
	v_add_co_ci_u32_e64 v15, s0, s9, v3, s0
	s_mov_b32 s0, 0x134454ff
	s_clause 0x3
	global_load_b128 v[2:5], v[14:15], off offset:768
	global_load_b128 v[6:9], v[14:15], off offset:784
	;; [unrolled: 1-line block ×4, first 2 shown]
	ds_load_b128 v[18:21], v88 offset:1792
	ds_load_b128 v[22:25], v88 offset:3584
	;; [unrolled: 1-line block ×8, first 2 shown]
	s_mov_b32 s1, 0x3fee6f0e
	s_mov_b32 s4, s0
	s_waitcnt vmcnt(3) lgkmcnt(7)
	v_mul_f64 v[50:51], v[20:21], v[4:5]
	s_waitcnt vmcnt(2) lgkmcnt(6)
	v_mul_f64 v[52:53], v[24:25], v[8:9]
	;; [unrolled: 2-line block ×3, first 2 shown]
	v_mul_f64 v[60:61], v[22:23], v[8:9]
	v_mul_f64 v[62:63], v[26:27], v[12:13]
	;; [unrolled: 1-line block ×3, first 2 shown]
	s_waitcnt vmcnt(0) lgkmcnt(4)
	v_mul_f64 v[58:59], v[32:33], v[16:17]
	v_mul_f64 v[64:65], v[30:31], v[16:17]
	s_waitcnt lgkmcnt(2)
	v_mul_f64 v[68:69], v[40:41], v[8:9]
	s_waitcnt lgkmcnt(1)
	v_mul_f64 v[70:71], v[44:45], v[12:13]
	v_mul_f64 v[8:9], v[38:39], v[8:9]
	v_mul_f64 v[12:13], v[42:43], v[12:13]
	v_mul_f64 v[66:67], v[36:37], v[4:5]
	v_mul_f64 v[4:5], v[34:35], v[4:5]
	s_waitcnt lgkmcnt(0)
	v_mul_f64 v[72:73], v[48:49], v[16:17]
	v_mul_f64 v[16:17], v[46:47], v[16:17]
	v_fma_f64 v[18:19], v[18:19], v[2:3], -v[50:51]
	v_fma_f64 v[22:23], v[22:23], v[6:7], -v[52:53]
	;; [unrolled: 1-line block ×3, first 2 shown]
	v_fma_f64 v[24:25], v[24:25], v[6:7], v[60:61]
	v_fma_f64 v[28:29], v[28:29], v[10:11], v[62:63]
	;; [unrolled: 1-line block ×3, first 2 shown]
	v_fma_f64 v[30:31], v[30:31], v[14:15], -v[58:59]
	v_fma_f64 v[32:33], v[32:33], v[14:15], v[64:65]
	v_fma_f64 v[38:39], v[38:39], v[6:7], -v[68:69]
	v_fma_f64 v[42:43], v[42:43], v[10:11], -v[70:71]
	v_fma_f64 v[40:41], v[40:41], v[6:7], v[8:9]
	v_fma_f64 v[10:11], v[44:45], v[10:11], v[12:13]
	v_fma_f64 v[34:35], v[34:35], v[2:3], -v[66:67]
	v_fma_f64 v[36:37], v[36:37], v[2:3], v[4:5]
	v_fma_f64 v[46:47], v[46:47], v[14:15], -v[72:73]
	v_fma_f64 v[12:13], v[48:49], v[14:15], v[16:17]
	ds_load_b128 v[2:5], v88
	ds_load_b128 v[6:9], v89
	s_waitcnt lgkmcnt(0)
	s_barrier
	buffer_gl0_inv
	v_add_f64 v[58:59], v[2:3], v[18:19]
	v_add_f64 v[14:15], v[22:23], v[26:27]
	v_add_f64 v[44:45], v[24:25], v[28:29]
	v_add_f64 v[64:65], v[4:5], v[20:21]
	v_add_f64 v[16:17], v[18:19], v[30:31]
	v_add_f64 v[48:49], v[20:21], v[32:33]
	v_add_f64 v[60:61], v[20:21], -v[32:33]
	v_add_f64 v[50:51], v[38:39], v[42:43]
	v_add_f64 v[70:71], v[18:19], -v[30:31]
	v_add_f64 v[54:55], v[40:41], v[10:11]
	v_add_f64 v[66:67], v[6:7], v[34:35]
	;; [unrolled: 1-line block ×5, first 2 shown]
	v_add_f64 v[62:63], v[24:25], -v[28:29]
	v_add_f64 v[72:73], v[36:37], -v[12:13]
	;; [unrolled: 1-line block ×17, first 2 shown]
	v_fma_f64 v[14:15], v[14:15], -0.5, v[2:3]
	v_fma_f64 v[44:45], v[44:45], -0.5, v[4:5]
	v_add_f64 v[24:25], v[64:65], v[24:25]
	v_fma_f64 v[2:3], v[16:17], -0.5, v[2:3]
	v_add_f64 v[16:17], v[22:23], -v[26:27]
	v_fma_f64 v[4:5], v[48:49], -0.5, v[4:5]
	v_fma_f64 v[50:51], v[50:51], -0.5, v[6:7]
	v_add_f64 v[48:49], v[40:41], -v[10:11]
	v_fma_f64 v[54:55], v[54:55], -0.5, v[8:9]
	v_add_f64 v[40:41], v[68:69], v[40:41]
	v_fma_f64 v[6:7], v[52:53], -0.5, v[6:7]
	v_add_f64 v[52:53], v[38:39], -v[42:43]
	v_fma_f64 v[8:9], v[56:57], -0.5, v[8:9]
	v_add_f64 v[56:57], v[18:19], -v[22:23]
	v_add_f64 v[18:19], v[22:23], -v[18:19]
	v_add_f64 v[22:23], v[58:59], v[22:23]
	v_add_f64 v[38:39], v[66:67], v[38:39]
	v_fma_f64 v[58:59], v[60:61], s[0:1], v[14:15]
	v_fma_f64 v[14:15], v[60:61], s[4:5], v[14:15]
	;; [unrolled: 1-line block ×16, first 2 shown]
	s_mov_b32 s0, 0x4755a5e
	s_mov_b32 s1, 0x3fe2cf23
	;; [unrolled: 1-line block ×4, first 2 shown]
	v_add_f64 v[56:57], v[56:57], v[76:77]
	v_add_f64 v[76:77], v[18:19], v[78:79]
	;; [unrolled: 1-line block ×12, first 2 shown]
	v_fma_f64 v[24:25], v[62:63], s[0:1], v[58:59]
	v_fma_f64 v[14:15], v[62:63], s[4:5], v[14:15]
	;; [unrolled: 1-line block ×16, first 2 shown]
	s_mov_b32 s0, 0x372fe950
	s_mov_b32 s1, 0x3fd3c6ef
	v_add_f64 v[2:3], v[18:19], v[30:31]
	v_add_f64 v[4:5], v[20:21], v[32:33]
	;; [unrolled: 1-line block ×4, first 2 shown]
	v_fma_f64 v[10:11], v[56:57], s[0:1], v[24:25]
	v_fma_f64 v[14:15], v[56:57], s[0:1], v[14:15]
	;; [unrolled: 1-line block ×16, first 2 shown]
	v_lshlrev_b64 v[42:43], 4, v[86:87]
	v_add_co_u32 v0, s0, s8, v0
	s_delay_alu instid0(VALU_DEP_1)
	v_add_co_ci_u32_e64 v1, s0, s9, v1, s0
	ds_store_b128 v88, v[2:5]
	ds_store_b128 v88, v[10:13] offset:896
	ds_store_b128 v88, v[18:21] offset:1792
	;; [unrolled: 1-line block ×9, first 2 shown]
	v_add_co_u32 v44, s0, s8, v42
	s_delay_alu instid0(VALU_DEP_1) | instskip(SKIP_1) | instid1(VALU_DEP_1)
	v_add_co_ci_u32_e64 v45, s0, s9, v43, s0
	v_add_co_u32 v42, s0, 0x1000, v0
	v_add_co_ci_u32_e64 v43, s0, 0, v1, s0
	s_delay_alu instid0(VALU_DEP_4) | instskip(NEXT) | instid1(VALU_DEP_1)
	v_add_co_u32 v44, s0, 0x1000, v44
	v_add_co_ci_u32_e64 v45, s0, 0, v45, s0
	s_waitcnt lgkmcnt(0)
	s_barrier
	buffer_gl0_inv
	s_clause 0x4
	global_load_b128 v[0:3], v[42:43], off offset:256
	global_load_b128 v[4:7], v[44:45], off offset:256
	;; [unrolled: 1-line block ×5, first 2 shown]
	ds_load_b128 v[20:23], v88 offset:4480
	ds_load_b128 v[24:27], v88 offset:5376
	;; [unrolled: 1-line block ×5, first 2 shown]
	s_waitcnt vmcnt(4) lgkmcnt(4)
	v_mul_f64 v[40:41], v[22:23], v[2:3]
	v_mul_f64 v[2:3], v[20:21], v[2:3]
	s_waitcnt vmcnt(3) lgkmcnt(3)
	v_mul_f64 v[42:43], v[26:27], v[6:7]
	v_mul_f64 v[6:7], v[24:25], v[6:7]
	;; [unrolled: 3-line block ×5, first 2 shown]
	v_fma_f64 v[20:21], v[20:21], v[0:1], -v[40:41]
	v_fma_f64 v[22:23], v[22:23], v[0:1], v[2:3]
	v_fma_f64 v[24:25], v[24:25], v[4:5], -v[42:43]
	v_fma_f64 v[26:27], v[26:27], v[4:5], v[6:7]
	;; [unrolled: 2-line block ×5, first 2 shown]
	ds_load_b128 v[0:3], v88
	ds_load_b128 v[4:7], v89
	ds_load_b128 v[8:11], v88 offset:1792
	ds_load_b128 v[12:15], v88 offset:2688
	;; [unrolled: 1-line block ×3, first 2 shown]
	s_waitcnt lgkmcnt(0)
	s_barrier
	buffer_gl0_inv
	v_add_f64 v[20:21], v[0:1], -v[20:21]
	v_add_f64 v[22:23], v[2:3], -v[22:23]
	;; [unrolled: 1-line block ×10, first 2 shown]
	v_fma_f64 v[0:1], v[0:1], 2.0, -v[20:21]
	v_fma_f64 v[2:3], v[2:3], 2.0, -v[22:23]
	;; [unrolled: 1-line block ×10, first 2 shown]
	ds_store_b128 v88, v[0:3]
	ds_store_b128 v88, v[20:23] offset:4480
	ds_store_b128 v89, v[4:7]
	ds_store_b128 v89, v[24:27] offset:4480
	ds_store_b128 v88, v[8:11] offset:1792
	ds_store_b128 v88, v[12:15] offset:2688
	ds_store_b128 v88, v[28:31] offset:6272
	ds_store_b128 v88, v[16:19] offset:3584
	ds_store_b128 v88, v[32:35] offset:7168
	ds_store_b128 v88, v[36:39] offset:8064
	s_waitcnt lgkmcnt(0)
	s_barrier
	buffer_gl0_inv
	s_and_saveexec_b32 s0, vcc_lo
	s_cbranch_execz .LBB0_21
; %bb.20:
	v_mul_lo_u32 v2, s3, v84
	v_mul_lo_u32 v3, s2, v85
	v_mad_u64_u32 v[0:1], null, s2, v84, 0
	v_mad_u64_u32 v[4:5], null, s12, v82, 0
	v_lshlrev_b64 v[6:7], 4, v[80:81]
	v_lshl_add_u32 v31, v82, 4, 0
	v_add_nc_u32_e32 v15, 0x70, v82
	v_add_nc_u32_e32 v18, 0xa8, v82
	v_add3_u32 v1, v1, v3, v2
	v_add_nc_u32_e32 v30, 0x150, v82
	v_mov_b32_e32 v2, v5
	v_mad_u64_u32 v[11:12], null, s12, v15, 0
	s_delay_alu instid0(VALU_DEP_4) | instskip(NEXT) | instid1(VALU_DEP_4)
	v_lshlrev_b64 v[0:1], 4, v[0:1]
	v_mad_u64_u32 v[27:28], null, s12, v30, 0
	s_delay_alu instid0(VALU_DEP_4) | instskip(SKIP_1) | instid1(VALU_DEP_4)
	v_mad_u64_u32 v[8:9], null, s13, v82, v[2:3]
	v_add_nc_u32_e32 v14, 56, v82
	v_add_co_u32 v13, vcc_lo, s6, v0
	v_add_co_ci_u32_e32 v16, vcc_lo, s7, v1, vcc_lo
	ds_load_b128 v[0:3], v31
	v_mov_b32_e32 v5, v8
	v_mad_u64_u32 v[9:10], null, s12, v14, 0
	v_add_co_u32 v32, vcc_lo, v13, v6
	v_add_co_ci_u32_e32 v33, vcc_lo, v16, v7, vcc_lo
	v_mov_b32_e32 v7, v12
	v_lshlrev_b64 v[4:5], 4, v[4:5]
	v_mov_b32_e32 v6, v10
	v_add_nc_u32_e32 v24, 0xe0, v82
	v_add_nc_u32_e32 v29, 0x118, v82
	s_delay_alu instid0(VALU_DEP_3)
	v_mad_u64_u32 v[12:13], null, s13, v14, v[6:7]
	v_mad_u64_u32 v[13:14], null, s13, v15, v[7:8]
	;; [unrolled: 1-line block ×3, first 2 shown]
	v_add_co_u32 v16, vcc_lo, v32, v4
	v_add_co_ci_u32_e32 v17, vcc_lo, v33, v5, vcc_lo
	v_mov_b32_e32 v10, v12
	ds_load_b128 v[4:7], v31 offset:896
	v_mov_b32_e32 v12, v13
	s_waitcnt lgkmcnt(1)
	global_store_b128 v[16:17], v[0:3], off
	v_mov_b32_e32 v0, v15
	v_lshlrev_b64 v[1:2], 4, v[9:10]
	v_mad_u64_u32 v[16:17], null, s12, v24, 0
	v_lshlrev_b64 v[8:9], 4, v[11:12]
	s_delay_alu instid0(VALU_DEP_3) | instskip(SKIP_2) | instid1(VALU_DEP_4)
	v_mad_u64_u32 v[10:11], null, s13, v18, v[0:1]
	v_add_co_u32 v18, vcc_lo, v32, v1
	v_add_co_ci_u32_e32 v19, vcc_lo, v33, v2, vcc_lo
	v_add_co_u32 v20, vcc_lo, v32, v8
	v_add_co_ci_u32_e32 v21, vcc_lo, v33, v9, vcc_lo
	v_mov_b32_e32 v15, v10
	ds_load_b128 v[0:3], v31 offset:1792
	ds_load_b128 v[8:11], v31 offset:2688
	v_mov_b32_e32 v12, v17
	s_waitcnt lgkmcnt(2)
	global_store_b128 v[18:19], v[4:7], off
	v_lshlrev_b64 v[13:14], 4, v[14:15]
	s_delay_alu instid0(VALU_DEP_1) | instskip(NEXT) | instid1(VALU_DEP_2)
	v_add_co_u32 v25, vcc_lo, v32, v13
	v_add_co_ci_u32_e32 v26, vcc_lo, v33, v14, vcc_lo
	s_waitcnt lgkmcnt(1)
	global_store_b128 v[20:21], v[0:3], off
	s_waitcnt lgkmcnt(0)
	global_store_b128 v[25:26], v[8:11], off
	v_add_nc_u32_e32 v11, 0x188, v82
	v_mad_u64_u32 v[22:23], null, s13, v24, v[12:13]
	v_mad_u64_u32 v[23:24], null, s12, v29, 0
	ds_load_b128 v[12:15], v31 offset:3584
	v_dual_mov_b32 v17, v22 :: v_dual_mov_b32 v4, v24
	s_delay_alu instid0(VALU_DEP_1) | instskip(SKIP_1) | instid1(VALU_DEP_3)
	v_lshlrev_b64 v[0:1], 4, v[16:17]
	v_mad_u64_u32 v[16:17], null, s12, v11, 0
	v_mad_u64_u32 v[2:3], null, s13, v29, v[4:5]
	v_mov_b32_e32 v3, v28
	s_delay_alu instid0(VALU_DEP_4) | instskip(SKIP_1) | instid1(VALU_DEP_2)
	v_add_co_u32 v4, vcc_lo, v32, v0
	v_add_co_ci_u32_e32 v5, vcc_lo, v33, v1, vcc_lo
	v_mad_u64_u32 v[6:7], null, s13, v30, v[3:4]
	v_mov_b32_e32 v24, v2
	ds_load_b128 v[0:3], v31 offset:4480
	s_waitcnt lgkmcnt(1)
	global_store_b128 v[4:5], v[12:15], off
	v_add_nc_u32_e32 v12, 0x1c0, v82
	v_add_nc_u32_e32 v13, 0x1f8, v82
	v_lshlrev_b64 v[4:5], 4, v[23:24]
	v_mov_b32_e32 v28, v6
	v_mov_b32_e32 v6, v17
	v_mad_u64_u32 v[20:21], null, s12, v12, 0
	v_mad_u64_u32 v[22:23], null, s12, v13, 0
	s_delay_alu instid0(VALU_DEP_4) | instskip(SKIP_3) | instid1(VALU_DEP_4)
	v_lshlrev_b64 v[7:8], 4, v[27:28]
	v_add_co_u32 v24, vcc_lo, v32, v4
	v_add_co_ci_u32_e32 v25, vcc_lo, v33, v5, vcc_lo
	v_mov_b32_e32 v4, v21
	v_mad_u64_u32 v[9:10], null, s13, v11, v[6:7]
	v_add_co_u32 v26, vcc_lo, v32, v7
	s_delay_alu instid0(VALU_DEP_3) | instskip(SKIP_3) | instid1(VALU_DEP_3)
	v_mad_u64_u32 v[5:6], null, s13, v12, v[4:5]
	v_mov_b32_e32 v4, v23
	v_add_co_ci_u32_e32 v27, vcc_lo, v33, v8, vcc_lo
	v_mov_b32_e32 v17, v9
	v_mad_u64_u32 v[28:29], null, s13, v13, v[4:5]
	v_mov_b32_e32 v21, v5
	ds_load_b128 v[4:7], v31 offset:5376
	ds_load_b128 v[8:11], v31 offset:6272
	v_lshlrev_b64 v[29:30], 4, v[16:17]
	ds_load_b128 v[12:15], v31 offset:7168
	ds_load_b128 v[16:19], v31 offset:8064
	v_lshlrev_b64 v[20:21], 4, v[20:21]
	v_mov_b32_e32 v23, v28
	v_add_co_u32 v28, vcc_lo, v32, v29
	v_add_co_ci_u32_e32 v29, vcc_lo, v33, v30, vcc_lo
	s_delay_alu instid0(VALU_DEP_3) | instskip(SKIP_2) | instid1(VALU_DEP_3)
	v_lshlrev_b64 v[22:23], 4, v[22:23]
	v_add_co_u32 v20, vcc_lo, v32, v20
	v_add_co_ci_u32_e32 v21, vcc_lo, v33, v21, vcc_lo
	v_add_co_u32 v22, vcc_lo, v32, v22
	s_delay_alu instid0(VALU_DEP_4)
	v_add_co_ci_u32_e32 v23, vcc_lo, v33, v23, vcc_lo
	s_waitcnt lgkmcnt(4)
	global_store_b128 v[24:25], v[0:3], off
	s_waitcnt lgkmcnt(3)
	global_store_b128 v[26:27], v[4:7], off
	;; [unrolled: 2-line block ×5, first 2 shown]
.LBB0_21:
	s_nop 0
	s_sendmsg sendmsg(MSG_DEALLOC_VGPRS)
	s_endpgm
	.section	.rodata,"a",@progbits
	.p2align	6, 0x0
	.amdhsa_kernel fft_rtc_fwd_len560_factors_8_7_5_2_wgs_56_tpt_56_dp_op_CI_CI_sbrr_dirReg
		.amdhsa_group_segment_fixed_size 0
		.amdhsa_private_segment_fixed_size 0
		.amdhsa_kernarg_size 104
		.amdhsa_user_sgpr_count 15
		.amdhsa_user_sgpr_dispatch_ptr 0
		.amdhsa_user_sgpr_queue_ptr 0
		.amdhsa_user_sgpr_kernarg_segment_ptr 1
		.amdhsa_user_sgpr_dispatch_id 0
		.amdhsa_user_sgpr_private_segment_size 0
		.amdhsa_wavefront_size32 1
		.amdhsa_uses_dynamic_stack 0
		.amdhsa_enable_private_segment 0
		.amdhsa_system_sgpr_workgroup_id_x 1
		.amdhsa_system_sgpr_workgroup_id_y 0
		.amdhsa_system_sgpr_workgroup_id_z 0
		.amdhsa_system_sgpr_workgroup_info 0
		.amdhsa_system_vgpr_workitem_id 0
		.amdhsa_next_free_vgpr 116
		.amdhsa_next_free_sgpr 31
		.amdhsa_reserve_vcc 1
		.amdhsa_float_round_mode_32 0
		.amdhsa_float_round_mode_16_64 0
		.amdhsa_float_denorm_mode_32 3
		.amdhsa_float_denorm_mode_16_64 3
		.amdhsa_dx10_clamp 1
		.amdhsa_ieee_mode 1
		.amdhsa_fp16_overflow 0
		.amdhsa_workgroup_processor_mode 1
		.amdhsa_memory_ordered 1
		.amdhsa_forward_progress 0
		.amdhsa_shared_vgpr_count 0
		.amdhsa_exception_fp_ieee_invalid_op 0
		.amdhsa_exception_fp_denorm_src 0
		.amdhsa_exception_fp_ieee_div_zero 0
		.amdhsa_exception_fp_ieee_overflow 0
		.amdhsa_exception_fp_ieee_underflow 0
		.amdhsa_exception_fp_ieee_inexact 0
		.amdhsa_exception_int_div_zero 0
	.end_amdhsa_kernel
	.text
.Lfunc_end0:
	.size	fft_rtc_fwd_len560_factors_8_7_5_2_wgs_56_tpt_56_dp_op_CI_CI_sbrr_dirReg, .Lfunc_end0-fft_rtc_fwd_len560_factors_8_7_5_2_wgs_56_tpt_56_dp_op_CI_CI_sbrr_dirReg
                                        ; -- End function
	.section	.AMDGPU.csdata,"",@progbits
; Kernel info:
; codeLenInByte = 8828
; NumSgprs: 33
; NumVgprs: 116
; ScratchSize: 0
; MemoryBound: 0
; FloatMode: 240
; IeeeMode: 1
; LDSByteSize: 0 bytes/workgroup (compile time only)
; SGPRBlocks: 4
; VGPRBlocks: 14
; NumSGPRsForWavesPerEU: 33
; NumVGPRsForWavesPerEU: 116
; Occupancy: 12
; WaveLimiterHint : 1
; COMPUTE_PGM_RSRC2:SCRATCH_EN: 0
; COMPUTE_PGM_RSRC2:USER_SGPR: 15
; COMPUTE_PGM_RSRC2:TRAP_HANDLER: 0
; COMPUTE_PGM_RSRC2:TGID_X_EN: 1
; COMPUTE_PGM_RSRC2:TGID_Y_EN: 0
; COMPUTE_PGM_RSRC2:TGID_Z_EN: 0
; COMPUTE_PGM_RSRC2:TIDIG_COMP_CNT: 0
	.text
	.p2alignl 7, 3214868480
	.fill 96, 4, 3214868480
	.type	__hip_cuid_90bbec37ceac1d9c,@object ; @__hip_cuid_90bbec37ceac1d9c
	.section	.bss,"aw",@nobits
	.globl	__hip_cuid_90bbec37ceac1d9c
__hip_cuid_90bbec37ceac1d9c:
	.byte	0                               ; 0x0
	.size	__hip_cuid_90bbec37ceac1d9c, 1

	.ident	"AMD clang version 19.0.0git (https://github.com/RadeonOpenCompute/llvm-project roc-6.4.0 25133 c7fe45cf4b819c5991fe208aaa96edf142730f1d)"
	.section	".note.GNU-stack","",@progbits
	.addrsig
	.addrsig_sym __hip_cuid_90bbec37ceac1d9c
	.amdgpu_metadata
---
amdhsa.kernels:
  - .args:
      - .actual_access:  read_only
        .address_space:  global
        .offset:         0
        .size:           8
        .value_kind:     global_buffer
      - .offset:         8
        .size:           8
        .value_kind:     by_value
      - .actual_access:  read_only
        .address_space:  global
        .offset:         16
        .size:           8
        .value_kind:     global_buffer
      - .actual_access:  read_only
        .address_space:  global
        .offset:         24
        .size:           8
        .value_kind:     global_buffer
      - .actual_access:  read_only
        .address_space:  global
        .offset:         32
        .size:           8
        .value_kind:     global_buffer
      - .offset:         40
        .size:           8
        .value_kind:     by_value
      - .actual_access:  read_only
        .address_space:  global
        .offset:         48
        .size:           8
        .value_kind:     global_buffer
      - .actual_access:  read_only
        .address_space:  global
        .offset:         56
        .size:           8
        .value_kind:     global_buffer
      - .offset:         64
        .size:           4
        .value_kind:     by_value
      - .actual_access:  read_only
        .address_space:  global
        .offset:         72
        .size:           8
        .value_kind:     global_buffer
      - .actual_access:  read_only
        .address_space:  global
        .offset:         80
        .size:           8
        .value_kind:     global_buffer
      - .actual_access:  read_only
        .address_space:  global
        .offset:         88
        .size:           8
        .value_kind:     global_buffer
      - .actual_access:  write_only
        .address_space:  global
        .offset:         96
        .size:           8
        .value_kind:     global_buffer
    .group_segment_fixed_size: 0
    .kernarg_segment_align: 8
    .kernarg_segment_size: 104
    .language:       OpenCL C
    .language_version:
      - 2
      - 0
    .max_flat_workgroup_size: 56
    .name:           fft_rtc_fwd_len560_factors_8_7_5_2_wgs_56_tpt_56_dp_op_CI_CI_sbrr_dirReg
    .private_segment_fixed_size: 0
    .sgpr_count:     33
    .sgpr_spill_count: 0
    .symbol:         fft_rtc_fwd_len560_factors_8_7_5_2_wgs_56_tpt_56_dp_op_CI_CI_sbrr_dirReg.kd
    .uniform_work_group_size: 1
    .uses_dynamic_stack: false
    .vgpr_count:     116
    .vgpr_spill_count: 0
    .wavefront_size: 32
    .workgroup_processor_mode: 1
amdhsa.target:   amdgcn-amd-amdhsa--gfx1100
amdhsa.version:
  - 1
  - 2
...

	.end_amdgpu_metadata
